;; amdgpu-corpus repo=ROCm/rocFFT kind=compiled arch=gfx1201 opt=O3
	.text
	.amdgcn_target "amdgcn-amd-amdhsa--gfx1201"
	.amdhsa_code_object_version 6
	.protected	fft_rtc_back_len882_factors_9_7_7_2_wgs_63_tpt_63_half_ip_CI_unitstride_sbrr_C2R_dirReg ; -- Begin function fft_rtc_back_len882_factors_9_7_7_2_wgs_63_tpt_63_half_ip_CI_unitstride_sbrr_C2R_dirReg
	.globl	fft_rtc_back_len882_factors_9_7_7_2_wgs_63_tpt_63_half_ip_CI_unitstride_sbrr_C2R_dirReg
	.p2align	8
	.type	fft_rtc_back_len882_factors_9_7_7_2_wgs_63_tpt_63_half_ip_CI_unitstride_sbrr_C2R_dirReg,@function
fft_rtc_back_len882_factors_9_7_7_2_wgs_63_tpt_63_half_ip_CI_unitstride_sbrr_C2R_dirReg: ; @fft_rtc_back_len882_factors_9_7_7_2_wgs_63_tpt_63_half_ip_CI_unitstride_sbrr_C2R_dirReg
; %bb.0:
	s_clause 0x2
	s_load_b128 s[4:7], s[0:1], 0x0
	s_load_b64 s[8:9], s[0:1], 0x50
	s_load_b64 s[10:11], s[0:1], 0x18
	v_mul_u32_u24_e32 v1, 0x411, v0
	v_mov_b32_e32 v3, 0
	s_delay_alu instid0(VALU_DEP_2) | instskip(NEXT) | instid1(VALU_DEP_1)
	v_lshrrev_b32_e32 v1, 16, v1
	v_add_nc_u32_e32 v5, ttmp9, v1
	v_mov_b32_e32 v1, 0
	v_mov_b32_e32 v2, 0
	;; [unrolled: 1-line block ×3, first 2 shown]
	s_wait_kmcnt 0x0
	v_cmp_lt_u64_e64 s2, s[6:7], 2
	s_delay_alu instid0(VALU_DEP_1)
	s_and_b32 vcc_lo, exec_lo, s2
	s_cbranch_vccnz .LBB0_8
; %bb.1:
	s_load_b64 s[2:3], s[0:1], 0x10
	v_mov_b32_e32 v1, 0
	v_mov_b32_e32 v2, 0
	s_add_nc_u64 s[12:13], s[10:11], 8
	s_mov_b64 s[14:15], 1
	s_wait_kmcnt 0x0
	s_add_nc_u64 s[16:17], s[2:3], 8
	s_mov_b32 s3, 0
.LBB0_2:                                ; =>This Inner Loop Header: Depth=1
	s_load_b64 s[18:19], s[16:17], 0x0
                                        ; implicit-def: $vgpr7_vgpr8
	s_mov_b32 s2, exec_lo
	s_wait_kmcnt 0x0
	v_or_b32_e32 v4, s19, v6
	s_delay_alu instid0(VALU_DEP_1)
	v_cmpx_ne_u64_e32 0, v[3:4]
	s_wait_alu 0xfffe
	s_xor_b32 s20, exec_lo, s2
	s_cbranch_execz .LBB0_4
; %bb.3:                                ;   in Loop: Header=BB0_2 Depth=1
	s_cvt_f32_u32 s2, s18
	s_cvt_f32_u32 s21, s19
	s_sub_nc_u64 s[24:25], 0, s[18:19]
	s_wait_alu 0xfffe
	s_delay_alu instid0(SALU_CYCLE_1) | instskip(SKIP_1) | instid1(SALU_CYCLE_2)
	s_fmamk_f32 s2, s21, 0x4f800000, s2
	s_wait_alu 0xfffe
	v_s_rcp_f32 s2, s2
	s_delay_alu instid0(TRANS32_DEP_1) | instskip(SKIP_1) | instid1(SALU_CYCLE_2)
	s_mul_f32 s2, s2, 0x5f7ffffc
	s_wait_alu 0xfffe
	s_mul_f32 s21, s2, 0x2f800000
	s_wait_alu 0xfffe
	s_delay_alu instid0(SALU_CYCLE_2) | instskip(SKIP_1) | instid1(SALU_CYCLE_2)
	s_trunc_f32 s21, s21
	s_wait_alu 0xfffe
	s_fmamk_f32 s2, s21, 0xcf800000, s2
	s_cvt_u32_f32 s23, s21
	s_wait_alu 0xfffe
	s_delay_alu instid0(SALU_CYCLE_1) | instskip(SKIP_1) | instid1(SALU_CYCLE_2)
	s_cvt_u32_f32 s22, s2
	s_wait_alu 0xfffe
	s_mul_u64 s[26:27], s[24:25], s[22:23]
	s_wait_alu 0xfffe
	s_mul_hi_u32 s29, s22, s27
	s_mul_i32 s28, s22, s27
	s_mul_hi_u32 s2, s22, s26
	s_mul_i32 s30, s23, s26
	s_wait_alu 0xfffe
	s_add_nc_u64 s[28:29], s[2:3], s[28:29]
	s_mul_hi_u32 s21, s23, s26
	s_mul_hi_u32 s31, s23, s27
	s_add_co_u32 s2, s28, s30
	s_wait_alu 0xfffe
	s_add_co_ci_u32 s2, s29, s21
	s_mul_i32 s26, s23, s27
	s_add_co_ci_u32 s27, s31, 0
	s_wait_alu 0xfffe
	s_add_nc_u64 s[26:27], s[2:3], s[26:27]
	s_wait_alu 0xfffe
	v_add_co_u32 v4, s2, s22, s26
	s_delay_alu instid0(VALU_DEP_1) | instskip(SKIP_1) | instid1(VALU_DEP_1)
	s_cmp_lg_u32 s2, 0
	s_add_co_ci_u32 s23, s23, s27
	v_readfirstlane_b32 s22, v4
	s_wait_alu 0xfffe
	s_delay_alu instid0(VALU_DEP_1)
	s_mul_u64 s[24:25], s[24:25], s[22:23]
	s_wait_alu 0xfffe
	s_mul_hi_u32 s27, s22, s25
	s_mul_i32 s26, s22, s25
	s_mul_hi_u32 s2, s22, s24
	s_mul_i32 s28, s23, s24
	s_wait_alu 0xfffe
	s_add_nc_u64 s[26:27], s[2:3], s[26:27]
	s_mul_hi_u32 s21, s23, s24
	s_mul_hi_u32 s22, s23, s25
	s_wait_alu 0xfffe
	s_add_co_u32 s2, s26, s28
	s_add_co_ci_u32 s2, s27, s21
	s_mul_i32 s24, s23, s25
	s_add_co_ci_u32 s25, s22, 0
	s_wait_alu 0xfffe
	s_add_nc_u64 s[24:25], s[2:3], s[24:25]
	s_wait_alu 0xfffe
	v_add_co_u32 v4, s2, v4, s24
	s_delay_alu instid0(VALU_DEP_1) | instskip(SKIP_1) | instid1(VALU_DEP_1)
	s_cmp_lg_u32 s2, 0
	s_add_co_ci_u32 s2, s23, s25
	v_mul_hi_u32 v13, v5, v4
	s_wait_alu 0xfffe
	v_mad_co_u64_u32 v[7:8], null, v5, s2, 0
	v_mad_co_u64_u32 v[9:10], null, v6, v4, 0
	;; [unrolled: 1-line block ×3, first 2 shown]
	s_delay_alu instid0(VALU_DEP_3) | instskip(SKIP_1) | instid1(VALU_DEP_4)
	v_add_co_u32 v4, vcc_lo, v13, v7
	s_wait_alu 0xfffd
	v_add_co_ci_u32_e32 v7, vcc_lo, 0, v8, vcc_lo
	s_delay_alu instid0(VALU_DEP_2) | instskip(SKIP_1) | instid1(VALU_DEP_2)
	v_add_co_u32 v4, vcc_lo, v4, v9
	s_wait_alu 0xfffd
	v_add_co_ci_u32_e32 v4, vcc_lo, v7, v10, vcc_lo
	s_wait_alu 0xfffd
	v_add_co_ci_u32_e32 v7, vcc_lo, 0, v12, vcc_lo
	s_delay_alu instid0(VALU_DEP_2) | instskip(SKIP_1) | instid1(VALU_DEP_2)
	v_add_co_u32 v4, vcc_lo, v4, v11
	s_wait_alu 0xfffd
	v_add_co_ci_u32_e32 v9, vcc_lo, 0, v7, vcc_lo
	s_delay_alu instid0(VALU_DEP_2) | instskip(SKIP_1) | instid1(VALU_DEP_3)
	v_mul_lo_u32 v10, s19, v4
	v_mad_co_u64_u32 v[7:8], null, s18, v4, 0
	v_mul_lo_u32 v11, s18, v9
	s_delay_alu instid0(VALU_DEP_2) | instskip(NEXT) | instid1(VALU_DEP_2)
	v_sub_co_u32 v7, vcc_lo, v5, v7
	v_add3_u32 v8, v8, v11, v10
	s_delay_alu instid0(VALU_DEP_1) | instskip(SKIP_1) | instid1(VALU_DEP_1)
	v_sub_nc_u32_e32 v10, v6, v8
	s_wait_alu 0xfffd
	v_subrev_co_ci_u32_e64 v10, s2, s19, v10, vcc_lo
	v_add_co_u32 v11, s2, v4, 2
	s_wait_alu 0xf1ff
	v_add_co_ci_u32_e64 v12, s2, 0, v9, s2
	v_sub_co_u32 v13, s2, v7, s18
	v_sub_co_ci_u32_e32 v8, vcc_lo, v6, v8, vcc_lo
	s_wait_alu 0xf1ff
	v_subrev_co_ci_u32_e64 v10, s2, 0, v10, s2
	s_delay_alu instid0(VALU_DEP_3) | instskip(NEXT) | instid1(VALU_DEP_3)
	v_cmp_le_u32_e32 vcc_lo, s18, v13
	v_cmp_eq_u32_e64 s2, s19, v8
	s_wait_alu 0xfffd
	v_cndmask_b32_e64 v13, 0, -1, vcc_lo
	v_cmp_le_u32_e32 vcc_lo, s19, v10
	s_wait_alu 0xfffd
	v_cndmask_b32_e64 v14, 0, -1, vcc_lo
	v_cmp_le_u32_e32 vcc_lo, s18, v7
	;; [unrolled: 3-line block ×3, first 2 shown]
	s_wait_alu 0xfffd
	v_cndmask_b32_e64 v15, 0, -1, vcc_lo
	v_cmp_eq_u32_e32 vcc_lo, s19, v10
	s_wait_alu 0xf1ff
	s_delay_alu instid0(VALU_DEP_2)
	v_cndmask_b32_e64 v7, v15, v7, s2
	s_wait_alu 0xfffd
	v_cndmask_b32_e32 v10, v14, v13, vcc_lo
	v_add_co_u32 v13, vcc_lo, v4, 1
	s_wait_alu 0xfffd
	v_add_co_ci_u32_e32 v14, vcc_lo, 0, v9, vcc_lo
	s_delay_alu instid0(VALU_DEP_3) | instskip(SKIP_2) | instid1(VALU_DEP_3)
	v_cmp_ne_u32_e32 vcc_lo, 0, v10
	s_wait_alu 0xfffd
	v_cndmask_b32_e32 v10, v13, v11, vcc_lo
	v_cndmask_b32_e32 v8, v14, v12, vcc_lo
	v_cmp_ne_u32_e32 vcc_lo, 0, v7
	s_wait_alu 0xfffd
	s_delay_alu instid0(VALU_DEP_2)
	v_dual_cndmask_b32 v7, v4, v10 :: v_dual_cndmask_b32 v8, v9, v8
.LBB0_4:                                ;   in Loop: Header=BB0_2 Depth=1
	s_wait_alu 0xfffe
	s_and_not1_saveexec_b32 s2, s20
	s_cbranch_execz .LBB0_6
; %bb.5:                                ;   in Loop: Header=BB0_2 Depth=1
	v_cvt_f32_u32_e32 v4, s18
	s_sub_co_i32 s20, 0, s18
	s_delay_alu instid0(VALU_DEP_1) | instskip(NEXT) | instid1(TRANS32_DEP_1)
	v_rcp_iflag_f32_e32 v4, v4
	v_mul_f32_e32 v4, 0x4f7ffffe, v4
	s_delay_alu instid0(VALU_DEP_1) | instskip(SKIP_1) | instid1(VALU_DEP_1)
	v_cvt_u32_f32_e32 v4, v4
	s_wait_alu 0xfffe
	v_mul_lo_u32 v7, s20, v4
	s_delay_alu instid0(VALU_DEP_1) | instskip(NEXT) | instid1(VALU_DEP_1)
	v_mul_hi_u32 v7, v4, v7
	v_add_nc_u32_e32 v4, v4, v7
	s_delay_alu instid0(VALU_DEP_1) | instskip(NEXT) | instid1(VALU_DEP_1)
	v_mul_hi_u32 v4, v5, v4
	v_mul_lo_u32 v7, v4, s18
	v_add_nc_u32_e32 v8, 1, v4
	s_delay_alu instid0(VALU_DEP_2) | instskip(NEXT) | instid1(VALU_DEP_1)
	v_sub_nc_u32_e32 v7, v5, v7
	v_subrev_nc_u32_e32 v9, s18, v7
	v_cmp_le_u32_e32 vcc_lo, s18, v7
	s_wait_alu 0xfffd
	s_delay_alu instid0(VALU_DEP_2) | instskip(NEXT) | instid1(VALU_DEP_1)
	v_dual_cndmask_b32 v7, v7, v9 :: v_dual_cndmask_b32 v4, v4, v8
	v_cmp_le_u32_e32 vcc_lo, s18, v7
	s_delay_alu instid0(VALU_DEP_2) | instskip(SKIP_1) | instid1(VALU_DEP_1)
	v_add_nc_u32_e32 v8, 1, v4
	s_wait_alu 0xfffd
	v_dual_cndmask_b32 v7, v4, v8 :: v_dual_mov_b32 v8, v3
.LBB0_6:                                ;   in Loop: Header=BB0_2 Depth=1
	s_wait_alu 0xfffe
	s_or_b32 exec_lo, exec_lo, s2
	s_load_b64 s[20:21], s[12:13], 0x0
	s_delay_alu instid0(VALU_DEP_1)
	v_mul_lo_u32 v4, v8, s18
	v_mul_lo_u32 v11, v7, s19
	v_mad_co_u64_u32 v[9:10], null, v7, s18, 0
	s_add_nc_u64 s[14:15], s[14:15], 1
	s_add_nc_u64 s[12:13], s[12:13], 8
	s_wait_alu 0xfffe
	v_cmp_ge_u64_e64 s2, s[14:15], s[6:7]
	s_add_nc_u64 s[16:17], s[16:17], 8
	s_delay_alu instid0(VALU_DEP_2) | instskip(NEXT) | instid1(VALU_DEP_3)
	v_add3_u32 v4, v10, v11, v4
	v_sub_co_u32 v5, vcc_lo, v5, v9
	s_wait_alu 0xfffd
	s_delay_alu instid0(VALU_DEP_2) | instskip(SKIP_3) | instid1(VALU_DEP_2)
	v_sub_co_ci_u32_e32 v4, vcc_lo, v6, v4, vcc_lo
	s_and_b32 vcc_lo, exec_lo, s2
	s_wait_kmcnt 0x0
	v_mul_lo_u32 v6, s21, v5
	v_mul_lo_u32 v4, s20, v4
	v_mad_co_u64_u32 v[1:2], null, s20, v5, v[1:2]
	s_delay_alu instid0(VALU_DEP_1)
	v_add3_u32 v2, v6, v2, v4
	s_wait_alu 0xfffe
	s_cbranch_vccnz .LBB0_9
; %bb.7:                                ;   in Loop: Header=BB0_2 Depth=1
	v_dual_mov_b32 v5, v7 :: v_dual_mov_b32 v6, v8
	s_branch .LBB0_2
.LBB0_8:
	v_dual_mov_b32 v8, v6 :: v_dual_mov_b32 v7, v5
.LBB0_9:
	s_lshl_b64 s[2:3], s[6:7], 3
	v_mul_hi_u32 v3, 0x4104105, v0
	s_wait_alu 0xfffe
	s_add_nc_u64 s[2:3], s[10:11], s[2:3]
	s_load_b64 s[2:3], s[2:3], 0x0
	s_load_b64 s[0:1], s[0:1], 0x20
	s_delay_alu instid0(VALU_DEP_1)
	v_mul_u32_u24_e32 v3, 63, v3
	s_wait_kmcnt 0x0
	v_mul_lo_u32 v4, s2, v8
	v_mul_lo_u32 v5, s3, v7
	v_mad_co_u64_u32 v[1:2], null, s2, v7, v[1:2]
	v_cmp_gt_u64_e32 vcc_lo, s[0:1], v[7:8]
	s_delay_alu instid0(VALU_DEP_2) | instskip(SKIP_2) | instid1(VALU_DEP_3)
	v_add3_u32 v2, v5, v2, v4
	v_sub_nc_u32_e32 v4, v0, v3
	v_mov_b32_e32 v5, 0
	v_lshlrev_b64_e32 v[2:3], 2, v[1:2]
	s_delay_alu instid0(VALU_DEP_3)
	v_mov_b32_e32 v0, v4
	s_and_saveexec_b32 s1, vcc_lo
	s_cbranch_execz .LBB0_13
; %bb.10:
	v_lshlrev_b64_e32 v[6:7], 2, v[4:5]
	s_delay_alu instid0(VALU_DEP_3) | instskip(SKIP_3) | instid1(VALU_DEP_3)
	v_add_co_u32 v0, s0, s8, v2
	s_wait_alu 0xf1ff
	v_add_co_ci_u32_e64 v1, s0, s9, v3, s0
	v_lshl_add_u32 v21, v4, 2, 0
	v_add_co_u32 v6, s0, v0, v6
	s_wait_alu 0xf1ff
	s_delay_alu instid0(VALU_DEP_3)
	v_add_co_ci_u32_e64 v7, s0, v1, v7, s0
	s_mov_b32 s2, exec_lo
	v_add_nc_u32_e32 v24, 0x600, v21
	v_add_nc_u32_e32 v25, 0x800, v21
	s_clause 0xd
	global_load_b32 v8, v[6:7], off
	global_load_b32 v9, v[6:7], off offset:252
	global_load_b32 v10, v[6:7], off offset:504
	;; [unrolled: 1-line block ×13, first 2 shown]
	v_dual_mov_b32 v6, v5 :: v_dual_add_nc_u32 v23, 0x400, v21
	v_dual_mov_b32 v5, v4 :: v_dual_add_nc_u32 v22, 0x200, v21
	v_add_nc_u32_e32 v26, 0xa00, v21
	s_wait_loadcnt 0xc
	ds_store_2addr_b32 v21, v8, v9 offset1:63
	s_wait_loadcnt 0xa
	ds_store_2addr_b32 v21, v10, v11 offset0:126 offset1:189
	s_wait_loadcnt 0x8
	ds_store_2addr_b32 v22, v12, v13 offset0:124 offset1:187
	;; [unrolled: 2-line block ×6, first 2 shown]
	v_cmpx_eq_u32_e32 62, v4
	s_cbranch_execz .LBB0_12
; %bb.11:
	global_load_b32 v0, v[0:1], off offset:3528
	v_dual_mov_b32 v5, 62 :: v_dual_mov_b32 v4, 62
	v_dual_mov_b32 v1, 0 :: v_dual_mov_b32 v6, 0
	s_wait_loadcnt 0x0
	ds_store_b32 v1, v0 offset:3528
.LBB0_12:
	s_wait_alu 0xfffe
	s_or_b32 exec_lo, exec_lo, s2
	v_mov_b32_e32 v0, v4
	v_mov_b32_e32 v4, v5
	;; [unrolled: 1-line block ×3, first 2 shown]
.LBB0_13:
	s_wait_alu 0xfffe
	s_or_b32 exec_lo, exec_lo, s1
	v_lshlrev_b32_e32 v1, 2, v0
	global_wb scope:SCOPE_SE
	s_wait_dscnt 0x0
	s_barrier_signal -1
	s_barrier_wait -1
	global_inv scope:SCOPE_SE
	v_add_nc_u32_e32 v26, 0, v1
	v_sub_nc_u32_e32 v8, 0, v1
	v_lshlrev_b64_e32 v[4:5], 2, v[4:5]
	s_mov_b32 s1, exec_lo
	ds_load_u16 v1, v26
	ds_load_u16 v6, v8 offset:3528
	s_wait_dscnt 0x0
	v_add_f16_e32 v9, v6, v1
	v_sub_f16_e32 v10, v1, v6
	v_cmpx_ne_u32_e32 0, v0
	s_wait_alu 0xfffe
	s_xor_b32 s1, exec_lo, s1
	s_cbranch_execz .LBB0_15
; %bb.14:
	v_add_co_u32 v9, s0, s4, v4
	s_wait_alu 0xf1ff
	v_add_co_ci_u32_e64 v10, s0, s5, v5, s0
	v_add_f16_e32 v11, v6, v1
	v_sub_f16_e32 v1, v1, v6
	global_load_b32 v7, v[9:10], off offset:3492
	ds_load_u16 v9, v8 offset:3530
	ds_load_u16 v10, v26 offset:2
	s_wait_dscnt 0x0
	v_add_f16_e32 v6, v9, v10
	v_sub_f16_e32 v9, v10, v9
	s_wait_loadcnt 0x0
	v_lshrrev_b32_e32 v12, 16, v7
	s_delay_alu instid0(VALU_DEP_1) | instskip(NEXT) | instid1(VALU_DEP_3)
	v_fma_f16 v13, -v1, v12, v11
	v_fma_f16 v14, v6, v12, -v9
	v_fma_f16 v11, v1, v12, v11
	v_fma_f16 v10, v6, v12, v9
	s_delay_alu instid0(VALU_DEP_4) | instskip(NEXT) | instid1(VALU_DEP_4)
	v_fmac_f16_e32 v13, v7, v6
	v_fmac_f16_e32 v14, v1, v7
	s_delay_alu instid0(VALU_DEP_4) | instskip(NEXT) | instid1(VALU_DEP_4)
	v_fma_f16 v9, -v7, v6, v11
	v_fmac_f16_e32 v10, v1, v7
	s_delay_alu instid0(VALU_DEP_3)
	v_pack_b32_f16 v6, v13, v14
	ds_store_b32 v8, v6 offset:3528
.LBB0_15:
	s_wait_alu 0xfffe
	s_and_not1_saveexec_b32 s0, s1
	s_cbranch_execz .LBB0_17
; %bb.16:
	v_mov_b32_e32 v1, 0
	ds_load_b32 v6, v1 offset:1764
	s_wait_dscnt 0x0
	v_pk_mul_f16 v6, 0xc0004000, v6
	ds_store_b32 v1, v6 offset:1764
.LBB0_17:
	s_wait_alu 0xfffe
	s_or_b32 exec_lo, exec_lo, s0
	v_dual_mov_b32 v1, 0 :: v_dual_add_nc_u32 v28, 0x600, v26
	s_add_nc_u64 s[0:1], s[4:5], 0xda4
	v_perm_b32 v9, v10, v9, 0x5040100
	v_add_nc_u32_e32 v27, 0x400, v26
	s_delay_alu instid0(VALU_DEP_3) | instskip(SKIP_3) | instid1(VALU_DEP_3)
	v_lshlrev_b64_e32 v[6:7], 2, v[0:1]
	v_add_nc_u32_e32 v29, 0x800, v26
	v_lshlrev_b32_e32 v30, 5, v0
	s_wait_alu 0xfffe
	v_add_co_u32 v11, s0, s0, v6
	s_wait_alu 0xf1ff
	v_add_co_ci_u32_e64 v12, s0, s1, v7, s0
	v_cmp_gt_u32_e64 s0, 35, v0
	v_add_nc_u32_e32 v30, v26, v30
	s_clause 0x5
	global_load_b32 v1, v[11:12], off offset:252
	global_load_b32 v13, v[11:12], off offset:504
	;; [unrolled: 1-line block ×6, first 2 shown]
	ds_store_b32 v26, v9
	ds_load_b32 v9, v26 offset:252
	ds_load_b32 v10, v8 offset:3276
	s_wait_dscnt 0x1
	v_lshrrev_b32_e32 v12, 16, v9
	s_wait_dscnt 0x0
	v_lshrrev_b32_e32 v17, 16, v10
	v_add_f16_e32 v18, v9, v10
	v_sub_f16_e32 v9, v9, v10
	s_delay_alu instid0(VALU_DEP_3) | instskip(SKIP_3) | instid1(VALU_DEP_1)
	v_add_f16_e32 v10, v17, v12
	v_sub_f16_e32 v12, v12, v17
	s_wait_loadcnt 0x5
	v_lshrrev_b32_e32 v19, 16, v1
	v_fma_f16 v17, v9, v19, v18
	s_delay_alu instid0(VALU_DEP_3) | instskip(SKIP_2) | instid1(VALU_DEP_4)
	v_fma_f16 v20, v10, v19, v12
	v_fma_f16 v18, -v9, v19, v18
	v_fma_f16 v12, v10, v19, -v12
	v_fma_f16 v17, -v1, v10, v17
	s_delay_alu instid0(VALU_DEP_4) | instskip(NEXT) | instid1(VALU_DEP_4)
	v_fmac_f16_e32 v20, v9, v1
	v_fmac_f16_e32 v18, v1, v10
	s_delay_alu instid0(VALU_DEP_4) | instskip(NEXT) | instid1(VALU_DEP_3)
	v_fmac_f16_e32 v12, v9, v1
	v_pack_b32_f16 v1, v17, v20
	s_wait_loadcnt 0x4
	v_lshrrev_b32_e32 v17, 16, v13
	s_delay_alu instid0(VALU_DEP_3)
	v_pack_b32_f16 v9, v18, v12
	ds_store_b32 v26, v1 offset:252
	ds_store_b32 v8, v9 offset:3276
	ds_load_b32 v1, v26 offset:504
	ds_load_b32 v9, v8 offset:3024
	s_wait_dscnt 0x1
	v_lshrrev_b32_e32 v10, 16, v1
	s_wait_dscnt 0x0
	v_lshrrev_b32_e32 v12, 16, v9
	v_add_f16_e32 v18, v1, v9
	v_sub_f16_e32 v1, v1, v9
	s_delay_alu instid0(VALU_DEP_3) | instskip(SKIP_1) | instid1(VALU_DEP_3)
	v_add_f16_e32 v9, v12, v10
	v_sub_f16_e32 v10, v10, v12
	v_fma_f16 v12, v1, v17, v18
	v_fma_f16 v18, -v1, v17, v18
	s_delay_alu instid0(VALU_DEP_3) | instskip(SKIP_1) | instid1(VALU_DEP_4)
	v_fma_f16 v19, v9, v17, v10
	v_fma_f16 v10, v9, v17, -v10
	v_fma_f16 v12, -v13, v9, v12
	s_delay_alu instid0(VALU_DEP_4) | instskip(NEXT) | instid1(VALU_DEP_4)
	v_fmac_f16_e32 v18, v13, v9
	v_fmac_f16_e32 v19, v1, v13
	s_delay_alu instid0(VALU_DEP_4) | instskip(SKIP_2) | instid1(VALU_DEP_3)
	v_fmac_f16_e32 v10, v1, v13
	s_wait_loadcnt 0x3
	v_lshrrev_b32_e32 v13, 16, v14
	v_pack_b32_f16 v1, v12, v19
	s_delay_alu instid0(VALU_DEP_3)
	v_pack_b32_f16 v9, v18, v10
	ds_store_b32 v26, v1 offset:504
	ds_store_b32 v8, v9 offset:3024
	ds_load_b32 v1, v26 offset:756
	ds_load_b32 v9, v8 offset:2772
	s_wait_dscnt 0x1
	v_lshrrev_b32_e32 v10, 16, v1
	s_wait_dscnt 0x0
	v_lshrrev_b32_e32 v12, 16, v9
	v_add_f16_e32 v17, v1, v9
	v_sub_f16_e32 v1, v1, v9
	s_delay_alu instid0(VALU_DEP_3) | instskip(SKIP_1) | instid1(VALU_DEP_3)
	v_add_f16_e32 v9, v12, v10
	v_sub_f16_e32 v10, v10, v12
	v_fma_f16 v12, v1, v13, v17
	v_fma_f16 v17, -v1, v13, v17
	s_delay_alu instid0(VALU_DEP_3) | instskip(SKIP_1) | instid1(VALU_DEP_4)
	v_fma_f16 v18, v9, v13, v10
	v_fma_f16 v10, v9, v13, -v10
	v_fma_f16 v12, -v14, v9, v12
	s_delay_alu instid0(VALU_DEP_4) | instskip(SKIP_4) | instid1(VALU_DEP_2)
	v_fmac_f16_e32 v17, v14, v9
	s_wait_loadcnt 0x2
	v_lshrrev_b32_e32 v13, 16, v15
	v_fmac_f16_e32 v18, v1, v14
	v_fmac_f16_e32 v10, v1, v14
	v_pack_b32_f16 v1, v12, v18
	s_delay_alu instid0(VALU_DEP_2)
	v_pack_b32_f16 v9, v17, v10
	ds_store_b32 v26, v1 offset:756
	ds_store_b32 v8, v9 offset:2772
	ds_load_b32 v1, v26 offset:1008
	ds_load_b32 v9, v8 offset:2520
	s_wait_dscnt 0x1
	v_lshrrev_b32_e32 v10, 16, v1
	s_wait_dscnt 0x0
	v_lshrrev_b32_e32 v12, 16, v9
	v_add_f16_e32 v14, v1, v9
	v_sub_f16_e32 v1, v1, v9
	s_delay_alu instid0(VALU_DEP_3) | instskip(SKIP_1) | instid1(VALU_DEP_3)
	v_add_f16_e32 v9, v12, v10
	v_sub_f16_e32 v10, v10, v12
	v_fma_f16 v12, v1, v13, v14
	v_fma_f16 v14, -v1, v13, v14
	s_delay_alu instid0(VALU_DEP_3) | instskip(SKIP_1) | instid1(VALU_DEP_4)
	v_fma_f16 v17, v9, v13, v10
	v_fma_f16 v10, v9, v13, -v10
	v_fma_f16 v12, -v15, v9, v12
	s_delay_alu instid0(VALU_DEP_4) | instskip(SKIP_4) | instid1(VALU_DEP_2)
	v_fmac_f16_e32 v14, v15, v9
	s_wait_loadcnt 0x1
	v_lshrrev_b32_e32 v13, 16, v16
	v_fmac_f16_e32 v17, v1, v15
	v_fmac_f16_e32 v10, v1, v15
	v_pack_b32_f16 v1, v12, v17
	s_delay_alu instid0(VALU_DEP_2)
	;; [unrolled: 28-line block ×3, first 2 shown]
	v_pack_b32_f16 v9, v14, v10
	ds_store_b32 v26, v1 offset:1260
	ds_store_b32 v8, v9 offset:2268
	ds_load_b32 v1, v26 offset:1512
	ds_load_b32 v9, v8 offset:2016
	s_wait_dscnt 0x1
	v_lshrrev_b32_e32 v10, 16, v1
	s_wait_dscnt 0x0
	v_lshrrev_b32_e32 v12, 16, v9
	v_add_f16_e32 v14, v1, v9
	v_sub_f16_e32 v1, v1, v9
	s_delay_alu instid0(VALU_DEP_3) | instskip(SKIP_1) | instid1(VALU_DEP_3)
	v_add_f16_e32 v9, v12, v10
	v_sub_f16_e32 v10, v10, v12
	v_fma_f16 v12, v1, v13, v14
	v_fma_f16 v14, -v1, v13, v14
	s_delay_alu instid0(VALU_DEP_3) | instskip(SKIP_1) | instid1(VALU_DEP_4)
	v_fma_f16 v15, v9, v13, v10
	v_fma_f16 v10, v9, v13, -v10
	v_fma_f16 v12, -v11, v9, v12
	s_delay_alu instid0(VALU_DEP_4) | instskip(NEXT) | instid1(VALU_DEP_4)
	v_fmac_f16_e32 v14, v11, v9
	v_fmac_f16_e32 v15, v1, v11
	s_delay_alu instid0(VALU_DEP_4) | instskip(SKIP_2) | instid1(VALU_DEP_4)
	v_fmac_f16_e32 v10, v1, v11
	v_add_nc_u32_e32 v1, 0x200, v26
	v_add_nc_u32_e32 v11, 0xc00, v26
	v_pack_b32_f16 v9, v12, v15
	s_delay_alu instid0(VALU_DEP_4)
	v_pack_b32_f16 v10, v14, v10
	ds_store_b32 v26, v9 offset:1512
	ds_store_b32 v8, v10 offset:2016
	global_wb scope:SCOPE_SE
	s_wait_dscnt 0x0
	s_barrier_signal -1
	s_barrier_wait -1
	global_inv scope:SCOPE_SE
	global_wb scope:SCOPE_SE
	s_barrier_signal -1
	s_barrier_wait -1
	global_inv scope:SCOPE_SE
	ds_load_2addr_b32 v[14:15], v26 offset0:98 offset1:161
	ds_load_2addr_b32 v[20:21], v1 offset0:68 offset1:131
	;; [unrolled: 1-line block ×6, first 2 shown]
	ds_load_2addr_b32 v[8:9], v26 offset1:63
	ds_load_2addr_b32 v[12:13], v27 offset0:136 offset1:199
	ds_load_2addr_b32 v[10:11], v28 offset0:106 offset1:169
	global_wb scope:SCOPE_SE
	s_wait_dscnt 0x0
	s_barrier_signal -1
	s_barrier_wait -1
	global_inv scope:SCOPE_SE
	v_pk_add_f16 v31, v14, v16
	v_pk_add_f16 v32, v20, v24
	;; [unrolled: 1-line block ×3, first 2 shown]
	v_pk_add_f16 v14, v14, v16 neg_lo:[0,1] neg_hi:[0,1]
	v_pk_add_f16 v16, v20, v24 neg_lo:[0,1] neg_hi:[0,1]
	;; [unrolled: 1-line block ×4, first 2 shown]
	v_pk_add_f16 v22, v12, v10
	v_lshrrev_b32_e32 v34, 16, v8
	v_lshrrev_b32_e32 v24, 16, v31
	v_fmamk_f16 v35, v31, 0x3a21, v8
	v_lshrrev_b32_e32 v36, 16, v32
	v_pk_add_f16 v37, v32, v31
	v_mul_f16_e32 v40, 0x3924, v14
	v_lshrrev_b32_e32 v43, 16, v20
	v_pk_mul_f16 v46, 0xb924, v20 op_sel_hi:[0,1]
	v_pk_fma_f16 v47, 0x3a21, v22, v8 op_sel_hi:[0,1,1]
	v_mul_f16_e32 v48, 0x3be1, v20
	v_lshrrev_b32_e32 v41, 16, v14
	v_fmamk_f16 v38, v32, 0x3a21, v8
	v_pk_mul_f16 v39, 0x3aee, v18 op_sel_hi:[0,1]
	v_lshrrev_b32_e32 v42, 16, v16
	v_pk_mul_f16 v44, v33, 0.5 op_sel_hi:[1,0]
	v_lshrrev_b32_e32 v45, 16, v22
	v_fmamk_f16 v51, v24, 0x3a21, v34
	v_fmac_f16_e32 v35, 0x318f, v32
	v_pk_add_f16 v52, v33, v37
	v_fmac_f16_e32 v34, 0x3a21, v36
	v_fmac_f16_e32 v40, 0x3be1, v16
	v_pk_fma_f16 v46, 0x3be1, v14, v46 op_sel_hi:[0,1,1]
	v_pk_fma_f16 v47, 0x318f, v31, v47 op_sel_hi:[0,1,1]
	v_mul_f16_e32 v56, 0x3be1, v43
	v_fma_f16 v48, v16, 0xb924, -v48
	v_pk_add_f16 v50, v20, v14
	v_mul_f16_e32 v53, 0x3924, v41
	v_pk_add_f16 v49, v33, v8
	v_lshrrev_b32_e32 v54, 16, v39
	v_lshrrev_b32_e32 v55, 16, v44
	v_fmac_f16_e32 v38, 0x318f, v22
	v_fmac_f16_e32 v51, 0x318f, v36
	v_pk_add_f16 v12, v12, v52
	v_add_f16_e32 v36, v39, v40
	v_sub_f16_e32 v35, v35, v44
	v_pk_fma_f16 v18, 0x3aee, v18, v46 op_sel_hi:[0,1,1] neg_lo:[0,1,0] neg_hi:[0,1,0]
	v_pk_fma_f16 v33, v33, 0.5, v47 op_sel_hi:[1,0,1] neg_lo:[1,0,0] neg_hi:[1,0,0]
	v_fma_f16 v40, v42, 0xb924, -v56
	v_add_f16_e32 v39, v39, v48
	v_fmac_f16_e32 v34, 0x318f, v45
	v_pk_add_f16 v50, v50, v16 neg_lo:[0,1] neg_hi:[0,1]
	v_pk_add_f16 v37, v22, v37
	v_fmac_f16_e32 v53, 0x3be1, v42
	v_sub_f16_e32 v38, v38, v44
	v_pk_add_f16 v10, v10, v12
	v_fmac_f16_e32 v35, 0xbb84, v22
	v_pk_fma_f16 v16, 0x3579, v16, v18 op_sel_hi:[0,1,1]
	v_pk_fma_f16 v18, 0xbb84, v32, v33 op_sel_hi:[0,1,1]
	v_add_f16_e32 v22, v54, v40
	v_fmac_f16_e32 v39, 0x3579, v14
	v_sub_f16_e32 v14, v34, v55
	v_pk_mul_f16 v42, 0x3aee, v50 op_sel_hi:[0,1]
	v_pk_fma_f16 v37, v37, 0.5, v49 op_sel_hi:[1,0,1] neg_lo:[1,0,0] neg_hi:[1,0,0]
	v_fmac_f16_e32 v36, 0x3579, v20
	v_sub_f16_e32 v20, v51, v55
	v_add_f16_e32 v12, v54, v53
	v_fmac_f16_e32 v38, 0xbb84, v31
	v_pk_add_f16 v8, v10, v8
	v_pk_add_f16 v10, v18, v16 op_sel:[0,1] op_sel_hi:[1,0] neg_lo:[0,1] neg_hi:[0,1]
	v_pk_add_f16 v18, v18, v16 op_sel:[0,1] op_sel_hi:[1,0]
	v_fmac_f16_e32 v22, 0x3579, v41
	v_fmac_f16_e32 v14, 0xbb84, v24
	v_pk_add_f16 v31, v37, v42 op_sel:[0,1] op_sel_hi:[1,0] neg_lo:[0,1] neg_hi:[0,1]
	v_pk_add_f16 v32, v37, v42 op_sel:[0,1] op_sel_hi:[1,0]
	v_fmac_f16_e32 v20, 0xbb84, v45
	v_fmac_f16_e32 v12, 0x3579, v43
	v_bfi_b32 v10, 0xffff, v10, v18
	v_sub_f16_e32 v18, v38, v22
	v_add_f16_e32 v14, v39, v14
	v_bfi_b32 v24, 0xffff, v31, v32
	v_add_f16_e32 v20, v36, v20
	v_sub_f16_e32 v31, v35, v12
	v_fma_f16 v22, 2.0, v22, v18
	v_fma_f16 v35, -2.0, v39, v14
	v_pk_fma_f16 v32, v42, 2.0, v24 op_sel:[1,0,0] op_sel_hi:[0,0,1]
	v_pk_fma_f16 v33, v42, 2.0, v24 op_sel:[1,0,0] op_sel_hi:[0,0,1] neg_lo:[1,0,0] neg_hi:[1,0,0]
	v_fma_f16 v34, -2.0, v36, v20
	v_pk_fma_f16 v36, v16, 2.0, v10 op_sel:[1,0,0] op_sel_hi:[0,0,1]
	v_pk_fma_f16 v16, v16, 2.0, v10 op_sel:[1,0,0] op_sel_hi:[0,0,1] neg_lo:[1,0,0] neg_hi:[1,0,0]
	v_fma_f16 v12, 2.0, v12, v31
	v_pack_b32_f16 v20, v31, v20
	v_pack_b32_f16 v14, v18, v14
	;; [unrolled: 1-line block ×3, first 2 shown]
	v_bfi_b32 v18, 0xffff, v32, v33
	v_bfi_b32 v16, 0xffff, v36, v16
	v_pack_b32_f16 v12, v12, v34
	ds_store_2addr_b32 v30, v8, v20 offset1:1
	ds_store_2addr_b32 v30, v10, v24 offset0:2 offset1:3
	ds_store_2addr_b32 v30, v14, v22 offset0:4 offset1:5
	;; [unrolled: 1-line block ×3, first 2 shown]
	ds_store_b32 v30, v12 offset:32
	s_and_saveexec_b32 s1, s0
	s_cbranch_execz .LBB0_19
; %bb.18:
	v_pk_add_f16 v12, v13, v11 neg_lo:[0,1] neg_hi:[0,1]
	v_pk_add_f16 v8, v21, v25
	v_pk_add_f16 v10, v19, v23
	v_pk_add_f16 v20, v21, v25 neg_lo:[0,1] neg_hi:[0,1]
	v_pk_add_f16 v19, v19, v23 neg_lo:[0,1] neg_hi:[0,1]
	v_lshrrev_b32_e32 v21, 16, v12
	v_pk_add_f16 v14, v15, v17
	v_fmamk_f16 v22, v8, 0x3a21, v9
	v_lshrrev_b32_e32 v24, 16, v20
	v_pk_mul_f16 v31, 0x3aee, v19 op_sel_hi:[0,1]
	v_mul_f16_e32 v25, 0x3be1, v21
	v_pk_add_f16 v32, v13, v11
	v_pk_add_f16 v33, v8, v14
	v_pk_add_f16 v15, v15, v17 neg_lo:[0,1] neg_hi:[0,1]
	v_pk_mul_f16 v34, v10, 0.5 op_sel_hi:[1,0]
	v_fma_f16 v17, v24, 0xb924, -v25
	v_lshrrev_b32_e32 v25, 16, v31
	v_fmac_f16_e32 v22, 0x318f, v32
	v_pk_add_f16 v35, v10, v33
	v_lshrrev_b32_e32 v37, 16, v15
	v_pk_fma_f16 v40, 0x3a21, v32, v9 op_sel_hi:[0,1,1]
	v_add_f16_e32 v17, v25, v17
	v_sub_f16_e32 v22, v22, v34
	v_pk_add_f16 v13, v13, v35
	v_lshrrev_b32_e32 v16, 16, v9
	v_lshrrev_b32_e32 v18, 16, v8
	v_fmac_f16_e32 v17, 0x3579, v37
	v_fmac_f16_e32 v22, 0xbb84, v14
	v_pk_add_f16 v11, v11, v13
	v_lshrrev_b32_e32 v36, 16, v14
	v_fmamk_f16 v35, v14, 0x3a21, v9
	v_pk_mul_f16 v39, 0xb924, v12 op_sel_hi:[0,1]
	v_sub_f16_e32 v13, v22, v17
	v_mul_f16_e32 v22, 0x3be1, v12
	v_pk_fma_f16 v14, 0x318f, v14, v40 op_sel_hi:[0,1,1]
	v_mul_f16_e32 v37, 0x3924, v37
	v_fmamk_f16 v23, v18, 0x3a21, v16
	v_lshrrev_b32_e32 v38, 16, v32
	v_fma_f16 v22, v20, 0xb924, -v22
	v_pk_fma_f16 v39, 0x3be1, v15, v39 op_sel_hi:[0,1,1]
	v_pk_fma_f16 v14, v10, 0.5, v14 op_sel_hi:[1,0,1] neg_lo:[1,0,0] neg_hi:[1,0,0]
	v_fmac_f16_e32 v37, 0x3be1, v24
	v_mul_f16_e32 v24, 0x3924, v15
	v_add_f16_e32 v22, v31, v22
	v_fmac_f16_e32 v16, 0x3a21, v36
	v_fmac_f16_e32 v23, 0x318f, v38
	v_lshrrev_b32_e32 v41, 16, v34
	v_fmac_f16_e32 v35, 0x318f, v8
	v_fmac_f16_e32 v22, 0x3579, v15
	v_pk_add_f16 v15, v12, v15
	v_pk_add_f16 v11, v11, v9
	v_pk_fma_f16 v19, 0x3aee, v19, v39 op_sel_hi:[0,1,1] neg_lo:[0,1,0] neg_hi:[0,1,0]
	v_pk_fma_f16 v8, 0xbb84, v8, v14 op_sel_hi:[0,1,1]
	v_add_f16_e32 v14, v25, v37
	v_fmac_f16_e32 v24, 0x3be1, v20
	v_pk_add_f16 v9, v10, v9
	v_pk_add_f16 v10, v15, v20 neg_lo:[0,1] neg_hi:[0,1]
	v_pk_add_f16 v15, v32, v33
	v_fmac_f16_e32 v16, 0x318f, v18
	v_sub_f16_e32 v23, v23, v41
	v_pk_fma_f16 v19, 0x3579, v20, v19 op_sel_hi:[0,1,1]
	v_fmac_f16_e32 v14, 0x3579, v21
	v_add_f16_e32 v21, v31, v24
	v_pk_mul_f16 v10, 0x3aee, v10 op_sel_hi:[0,1]
	v_pk_fma_f16 v9, v15, 0.5, v9 op_sel_hi:[1,0,1] neg_lo:[1,0,0] neg_hi:[1,0,0]
	v_sub_f16_e32 v20, v35, v34
	v_sub_f16_e32 v16, v16, v41
	v_fmac_f16_e32 v23, 0xbb84, v36
	v_pk_add_f16 v25, v8, v19 op_sel:[0,1] op_sel_hi:[1,0] neg_lo:[0,1] neg_hi:[0,1]
	v_fmac_f16_e32 v21, 0x3579, v12
	v_pk_add_f16 v8, v8, v19 op_sel:[0,1] op_sel_hi:[1,0]
	v_pk_add_f16 v12, v9, v10 op_sel:[0,1] op_sel_hi:[1,0] neg_lo:[0,1] neg_hi:[0,1]
	v_pk_add_f16 v9, v9, v10 op_sel:[0,1] op_sel_hi:[1,0]
	v_fmac_f16_e32 v20, 0xbb84, v32
	v_fmac_f16_e32 v16, 0xbb84, v38
	v_add_f16_e32 v23, v22, v23
	v_bfi_b32 v8, 0xffff, v25, v8
	v_bfi_b32 v9, 0xffff, v12, v9
	v_sub_f16_e32 v15, v20, v14
	v_add_f16_e32 v16, v21, v16
	v_fma_f16 v17, 2.0, v17, v13
	v_fma_f16 v20, -2.0, v22, v23
	v_pk_fma_f16 v22, v19, 2.0, v8 op_sel:[1,0,0] op_sel_hi:[0,0,1]
	v_pk_fma_f16 v24, v10, 2.0, v9 op_sel:[1,0,0] op_sel_hi:[0,0,1]
	v_pk_fma_f16 v10, v10, 2.0, v9 op_sel:[1,0,0] op_sel_hi:[0,0,1] neg_lo:[1,0,0] neg_hi:[1,0,0]
	v_pk_fma_f16 v19, v19, 2.0, v8 op_sel:[1,0,0] op_sel_hi:[0,0,1] neg_lo:[1,0,0] neg_hi:[1,0,0]
	v_fma_f16 v12, 2.0, v14, v15
	v_fma_f16 v14, -2.0, v21, v16
	v_add_nc_u32_e32 v21, 0x8e4, v30
	v_add_nc_u32_e32 v25, 0x8ec, v30
	v_pack_b32_f16 v13, v13, v23
	v_pack_b32_f16 v17, v17, v20
	v_bfi_b32 v10, 0xffff, v24, v10
	v_bfi_b32 v19, 0xffff, v22, v19
	v_add_nc_u32_e32 v20, 0x8f4, v30
	v_add_nc_u32_e32 v18, 0x8dc, v30
	v_pack_b32_f16 v15, v15, v16
	v_pack_b32_f16 v12, v12, v14
	ds_store_2addr_b32 v21, v8, v9 offset1:1
	ds_store_2addr_b32 v25, v13, v17 offset1:1
	;; [unrolled: 1-line block ×4, first 2 shown]
	ds_store_b32 v30, v12 offset:2300
.LBB0_19:
	s_wait_alu 0xfffe
	s_or_b32 exec_lo, exec_lo, s1
	v_and_b32_e32 v8, 0xff, v0
	global_wb scope:SCOPE_SE
	s_wait_dscnt 0x0
	s_barrier_signal -1
	s_barrier_wait -1
	global_inv scope:SCOPE_SE
	v_mul_lo_u16 v8, v8, 57
	v_mul_u32_u24_e32 v43, 6, v0
	v_add_co_u32 v4, s0, s4, v4
	s_wait_alu 0xf1ff
	v_add_co_ci_u32_e64 v5, s0, s5, v5, s0
	v_lshrrev_b16 v25, 9, v8
	v_add_nc_u16 v8, v0, 63
	v_lshlrev_b32_e32 v43, 2, v43
	v_add_co_u32 v6, s0, s4, v6
	s_delay_alu instid0(VALU_DEP_4) | instskip(NEXT) | instid1(VALU_DEP_4)
	v_mul_lo_u16 v9, v25, 9
	v_and_b32_e32 v10, 0xff, v8
	v_and_b32_e32 v25, 0xffff, v25
	s_wait_alu 0xf1ff
	v_add_co_ci_u32_e64 v7, s0, s5, v7, s0
	v_sub_nc_u16 v9, v0, v9
	v_mul_lo_u16 v10, v10, 57
	v_mul_u32_u24_e32 v25, 0xfc, v25
	s_delay_alu instid0(VALU_DEP_3) | instskip(NEXT) | instid1(VALU_DEP_3)
	v_and_b32_e32 v40, 0xff, v9
	v_lshrrev_b16 v41, 9, v10
	s_delay_alu instid0(VALU_DEP_2) | instskip(NEXT) | instid1(VALU_DEP_2)
	v_mul_u32_u24_e32 v9, 6, v40
	v_mul_lo_u16 v10, v41, 9
	v_and_b32_e32 v41, 0xffff, v41
	v_lshlrev_b32_e32 v40, 2, v40
	s_delay_alu instid0(VALU_DEP_4) | instskip(NEXT) | instid1(VALU_DEP_4)
	v_lshlrev_b32_e32 v13, 2, v9
	v_sub_nc_u16 v8, v8, v10
	s_delay_alu instid0(VALU_DEP_4) | instskip(NEXT) | instid1(VALU_DEP_4)
	v_mul_u32_u24_e32 v41, 0xfc, v41
	v_add3_u32 v25, 0, v25, v40
	s_clause 0x1
	global_load_b128 v[9:12], v13, s[4:5]
	global_load_b64 v[17:18], v13, s[4:5] offset:16
	v_and_b32_e32 v42, 0xff, v8
	s_delay_alu instid0(VALU_DEP_1) | instskip(SKIP_1) | instid1(VALU_DEP_2)
	v_mul_u32_u24_e32 v8, 6, v42
	v_lshlrev_b32_e32 v42, 2, v42
	v_lshlrev_b32_e32 v8, 2, v8
	s_delay_alu instid0(VALU_DEP_2)
	v_add3_u32 v40, 0, v41, v42
	s_clause 0x1
	global_load_b128 v[13:16], v8, s[4:5]
	global_load_b64 v[19:20], v8, s[4:5] offset:16
	v_add_nc_u32_e32 v8, 0xa00, v26
	ds_load_2addr_b32 v[21:22], v29 offset0:118 offset1:181
	ds_load_2addr_b32 v[23:24], v26 offset0:126 offset1:189
	ds_load_2addr_b32 v[30:31], v1 offset0:124 offset1:187
	ds_load_2addr_b32 v[32:33], v27 offset0:122 offset1:185
	ds_load_2addr_b32 v[34:35], v28 offset0:120 offset1:183
	ds_load_2addr_b32 v[36:37], v26 offset1:63
	ds_load_2addr_b32 v[38:39], v8 offset0:116 offset1:179
	global_wb scope:SCOPE_SE
	s_wait_loadcnt_dscnt 0x0
	s_barrier_signal -1
	s_barrier_wait -1
	global_inv scope:SCOPE_SE
	v_lshrrev_b32_e32 v44, 16, v21
	v_lshrrev_b32_e32 v50, 16, v23
	;; [unrolled: 1-line block ×20, first 2 shown]
	v_mul_f16_e32 v62, v41, v50
	v_mul_f16_e32 v41, v41, v23
	;; [unrolled: 1-line block ×12, first 2 shown]
	v_lshrrev_b32_e32 v68, 16, v13
	v_lshrrev_b32_e32 v69, 16, v14
	;; [unrolled: 1-line block ×6, first 2 shown]
	v_fmac_f16_e32 v62, v9, v23
	v_fma_f16 v9, v9, v50, -v41
	v_fmac_f16_e32 v63, v10, v30
	v_fma_f16 v10, v10, v51, -v42
	;; [unrolled: 2-line block ×6, first 2 shown]
	v_mul_f16_e32 v21, v45, v68
	v_mul_f16_e32 v23, v24, v68
	;; [unrolled: 1-line block ×12, first 2 shown]
	v_fmac_f16_e32 v21, v24, v13
	v_fma_f16 v13, v45, v13, -v23
	v_fmac_f16_e32 v30, v31, v14
	v_fma_f16 v14, v46, v14, -v32
	v_fmac_f16_e32 v34, v33, v15
	v_fmac_f16_e32 v41, v35, v16
	;; [unrolled: 1-line block ×3, first 2 shown]
	v_fma_f16 v19, v49, v19, -v50
	v_fmac_f16_e32 v51, v39, v20
	v_fma_f16 v20, v57, v20, -v52
	v_add_f16_e32 v22, v62, v67
	v_add_f16_e32 v23, v9, v18
	v_sub_f16_e32 v24, v62, v67
	v_sub_f16_e32 v9, v9, v18
	v_add_f16_e32 v18, v63, v66
	v_add_f16_e32 v31, v10, v17
	v_sub_f16_e32 v32, v63, v66
	v_sub_f16_e32 v10, v10, v17
	;; [unrolled: 4-line block ×3, first 2 shown]
	v_fma_f16 v15, v47, v15, -v38
	v_fma_f16 v16, v48, v16, -v42
	v_add_f16_e32 v12, v18, v22
	v_add_f16_e32 v38, v31, v23
	v_sub_f16_e32 v39, v18, v22
	v_sub_f16_e32 v42, v31, v23
	;; [unrolled: 1-line block ×6, first 2 shown]
	v_add_f16_e32 v45, v35, v32
	v_add_f16_e32 v46, v11, v10
	v_sub_f16_e32 v47, v35, v32
	v_sub_f16_e32 v48, v11, v10
	;; [unrolled: 1-line block ×4, first 2 shown]
	v_add_f16_e32 v49, v21, v51
	v_add_f16_e32 v50, v13, v20
	v_sub_f16_e32 v21, v21, v51
	v_sub_f16_e32 v13, v13, v20
	v_add_f16_e32 v20, v30, v44
	v_add_f16_e32 v51, v14, v19
	v_sub_f16_e32 v35, v24, v35
	v_sub_f16_e32 v11, v9, v11
	;; [unrolled: 1-line block ×4, first 2 shown]
	v_add_f16_e32 v19, v34, v41
	v_add_f16_e32 v44, v15, v16
	v_sub_f16_e32 v34, v41, v34
	v_sub_f16_e32 v15, v16, v15
	v_add_f16_e32 v12, v17, v12
	v_add_f16_e32 v16, v33, v38
	;; [unrolled: 1-line block ×4, first 2 shown]
	v_mul_f16_e32 v22, 0x3a52, v22
	v_mul_f16_e32 v23, 0x3a52, v23
	;; [unrolled: 1-line block ×8, first 2 shown]
	v_add_f16_e32 v47, v20, v49
	v_add_f16_e32 v48, v51, v50
	v_sub_f16_e32 v52, v20, v49
	v_sub_f16_e32 v53, v51, v50
	;; [unrolled: 1-line block ×5, first 2 shown]
	v_add_f16_e32 v56, v34, v30
	v_add_f16_e32 v57, v15, v14
	v_sub_f16_e32 v58, v34, v30
	v_sub_f16_e32 v59, v15, v14
	;; [unrolled: 1-line block ×4, first 2 shown]
	v_add_f16_e32 v36, v12, v36
	v_add_f16_e32 v54, v16, v54
	v_fmamk_f16 v18, v18, 0x2b26, v22
	v_fmamk_f16 v31, v31, 0x2b26, v23
	v_fma_f16 v24, v39, 0x39e0, -v24
	v_fma_f16 v33, v42, 0x39e0, -v33
	;; [unrolled: 1-line block ×4, first 2 shown]
	v_fmamk_f16 v39, v35, 0xb574, v38
	v_fmamk_f16 v42, v11, 0xb574, v41
	v_fma_f16 v32, v32, 0xbb00, -v38
	v_fma_f16 v10, v10, 0xbb00, -v41
	;; [unrolled: 1-line block ×4, first 2 shown]
	v_add_f16_e32 v19, v19, v47
	v_add_f16_e32 v38, v44, v48
	v_sub_f16_e32 v51, v44, v51
	v_sub_f16_e32 v34, v21, v34
	;; [unrolled: 1-line block ×3, first 2 shown]
	v_mul_f16_e32 v41, 0x3a52, v49
	v_mul_f16_e32 v44, 0x3a52, v50
	;; [unrolled: 1-line block ×7, first 2 shown]
	v_fmamk_f16 v12, v12, 0xbcab, v36
	v_fmamk_f16 v16, v16, 0xbcab, v54
	v_fmac_f16_e32 v39, 0xb70e, v17
	v_fmac_f16_e32 v42, 0xb70e, v9
	;; [unrolled: 1-line block ×6, first 2 shown]
	v_add_f16_e32 v9, v19, v37
	v_add_f16_e32 v17, v38, v55
	v_mul_f16_e32 v46, 0x2b26, v51
	v_add_f16_e32 v21, v56, v21
	v_add_f16_e32 v13, v57, v13
	v_fmamk_f16 v20, v20, 0x2b26, v41
	v_fmamk_f16 v37, v51, 0x2b26, v44
	v_fma_f16 v45, v52, 0x39e0, -v45
	v_fma_f16 v41, v52, 0xb9e0, -v41
	v_fmamk_f16 v51, v34, 0xb574, v47
	v_fmamk_f16 v52, v15, 0xb574, v48
	v_fma_f16 v30, v30, 0xbb00, -v47
	v_fma_f16 v14, v14, 0xbb00, -v48
	;; [unrolled: 1-line block ×4, first 2 shown]
	v_add_f16_e32 v18, v18, v12
	v_add_f16_e32 v31, v31, v16
	;; [unrolled: 1-line block ×6, first 2 shown]
	v_fmamk_f16 v19, v19, 0xbcab, v9
	v_fmamk_f16 v22, v38, 0xbcab, v17
	v_fma_f16 v46, v53, 0x39e0, -v46
	v_fma_f16 v44, v53, 0xb9e0, -v44
	v_fmac_f16_e32 v51, 0xb70e, v21
	v_fmac_f16_e32 v52, 0xb70e, v13
	;; [unrolled: 1-line block ×6, first 2 shown]
	v_pack_b32_f16 v9, v9, v17
	v_add_f16_e32 v13, v42, v18
	v_sub_f16_e32 v17, v31, v39
	v_add_f16_e32 v21, v11, v12
	v_sub_f16_e32 v23, v16, v35
	v_sub_f16_e32 v11, v12, v11
	v_add_f16_e32 v12, v35, v16
	v_sub_f16_e32 v16, v18, v42
	v_add_f16_e32 v18, v39, v31
	v_add_f16_e32 v20, v20, v19
	;; [unrolled: 1-line block ×3, first 2 shown]
	v_sub_f16_e32 v38, v24, v10
	v_add_f16_e32 v47, v32, v33
	v_add_f16_e32 v10, v10, v24
	v_sub_f16_e32 v24, v33, v32
	v_add_f16_e32 v32, v45, v19
	v_add_f16_e32 v19, v41, v19
	;; [unrolled: 1-line block ×4, first 2 shown]
	v_pack_b32_f16 v36, v36, v54
	v_add_f16_e32 v35, v52, v20
	v_sub_f16_e32 v37, v31, v51
	v_pack_b32_f16 v13, v13, v17
	v_add_f16_e32 v39, v15, v19
	v_sub_f16_e32 v41, v33, v34
	v_sub_f16_e32 v42, v32, v14
	v_add_f16_e32 v44, v30, v22
	v_pack_b32_f16 v17, v21, v23
	v_pack_b32_f16 v21, v38, v47
	v_add_f16_e32 v14, v14, v32
	v_sub_f16_e32 v22, v22, v30
	v_sub_f16_e32 v15, v19, v15
	v_add_f16_e32 v19, v34, v33
	v_pack_b32_f16 v10, v10, v24
	v_pack_b32_f16 v11, v11, v12
	v_sub_f16_e32 v20, v20, v52
	v_add_f16_e32 v12, v51, v31
	v_pack_b32_f16 v16, v16, v18
	ds_store_2addr_b32 v25, v36, v13 offset1:9
	ds_store_2addr_b32 v25, v17, v21 offset0:18 offset1:27
	ds_store_2addr_b32 v25, v10, v11 offset0:36 offset1:45
	v_pack_b32_f16 v10, v35, v37
	v_pack_b32_f16 v11, v39, v41
	;; [unrolled: 1-line block ×6, first 2 shown]
	ds_store_b32 v25, v16 offset:216
	ds_store_2addr_b32 v40, v9, v10 offset1:9
	ds_store_2addr_b32 v40, v11, v13 offset0:18 offset1:27
	ds_store_2addr_b32 v40, v14, v15 offset0:36 offset1:45
	ds_store_b32 v40, v12 offset:216
	global_wb scope:SCOPE_SE
	s_wait_dscnt 0x0
	s_barrier_signal -1
	s_barrier_wait -1
	global_inv scope:SCOPE_SE
	s_clause 0x1
	global_load_b128 v[9:12], v43, s[4:5] offset:216
	global_load_b64 v[13:14], v43, s[4:5] offset:232
	ds_load_2addr_b32 v[15:16], v8 offset0:116 offset1:179
	ds_load_2addr_b32 v[17:18], v26 offset0:126 offset1:189
	;; [unrolled: 1-line block ×6, first 2 shown]
	ds_load_2addr_b32 v[32:33], v26 offset1:63
	global_wb scope:SCOPE_SE
	s_wait_loadcnt_dscnt 0x0
	s_barrier_signal -1
	s_barrier_wait -1
	global_inv scope:SCOPE_SE
	v_lshrrev_b32_e32 v25, 16, v15
	v_lshrrev_b32_e32 v40, 16, v17
	;; [unrolled: 1-line block ×20, first 2 shown]
	v_mul_f16_e32 v53, v47, v40
	v_mul_f16_e32 v54, v47, v17
	;; [unrolled: 1-line block ×24, first 2 shown]
	v_fmac_f16_e32 v53, v9, v17
	v_fma_f16 v17, v9, v40, -v54
	v_fmac_f16_e32 v55, v10, v19
	v_fma_f16 v19, v10, v41, -v56
	;; [unrolled: 2-line block ×12, first 2 shown]
	v_add_f16_e32 v16, v53, v63
	v_add_f16_e32 v18, v17, v15
	v_sub_f16_e32 v15, v17, v15
	v_add_f16_e32 v17, v55, v61
	v_add_f16_e32 v22, v19, v30
	v_sub_f16_e32 v24, v55, v61
	v_sub_f16_e32 v19, v19, v30
	v_add_f16_e32 v25, v57, v59
	v_add_f16_e32 v30, v21, v23
	v_sub_f16_e32 v31, v59, v57
	;; [unrolled: 4-line block ×3, first 2 shown]
	v_add_f16_e32 v14, v66, v69
	v_add_f16_e32 v36, v10, v13
	;; [unrolled: 1-line block ×3, first 2 shown]
	v_sub_f16_e32 v11, v12, v11
	v_add_f16_e32 v12, v17, v16
	v_add_f16_e32 v40, v22, v18
	v_sub_f16_e32 v20, v53, v63
	v_sub_f16_e32 v10, v10, v13
	;; [unrolled: 1-line block ×4, first 2 shown]
	v_add_f16_e32 v13, v67, v68
	v_sub_f16_e32 v39, v68, v67
	v_sub_f16_e32 v41, v17, v16
	v_sub_f16_e32 v42, v22, v18
	v_sub_f16_e32 v16, v16, v25
	v_sub_f16_e32 v18, v18, v30
	v_sub_f16_e32 v17, v25, v17
	v_sub_f16_e32 v22, v30, v22
	v_add_f16_e32 v43, v31, v24
	v_add_f16_e32 v44, v21, v19
	v_sub_f16_e32 v47, v31, v24
	v_sub_f16_e32 v48, v21, v19
	;; [unrolled: 1-line block ×3, first 2 shown]
	v_add_f16_e32 v49, v14, v23
	v_add_f16_e32 v50, v36, v34
	;; [unrolled: 1-line block ×4, first 2 shown]
	v_sub_f16_e32 v24, v24, v20
	v_add_f16_e32 v54, v11, v10
	v_sub_f16_e32 v56, v11, v10
	v_sub_f16_e32 v10, v10, v9
	;; [unrolled: 1-line block ×10, first 2 shown]
	v_add_f16_e32 v53, v39, v37
	v_sub_f16_e32 v55, v39, v37
	v_sub_f16_e32 v37, v37, v35
	v_add_f16_e32 v20, v43, v20
	v_add_f16_e32 v15, v44, v15
	v_mul_f16_e32 v16, 0x3a52, v16
	v_mul_f16_e32 v18, 0x3a52, v18
	;; [unrolled: 1-line block ×7, first 2 shown]
	v_add_f16_e32 v13, v13, v49
	v_add_f16_e32 v38, v38, v50
	;; [unrolled: 1-line block ×4, first 2 shown]
	v_sub_f16_e32 v11, v9, v11
	v_mul_f16_e32 v47, 0xbb00, v24
	v_add_f16_e32 v9, v54, v9
	v_mul_f16_e32 v54, 0x3846, v56
	v_mul_f16_e32 v56, 0xbb00, v10
	v_sub_f16_e32 v39, v35, v39
	v_add_f16_e32 v35, v53, v35
	v_mul_f16_e32 v23, 0x3a52, v23
	v_mul_f16_e32 v34, 0x3a52, v34
	;; [unrolled: 1-line block ×6, first 2 shown]
	v_fmamk_f16 v17, v17, 0x2b26, v16
	v_fmamk_f16 v22, v22, 0x2b26, v18
	v_fma_f16 v30, v41, 0x39e0, -v30
	v_fma_f16 v40, v42, 0x39e0, -v40
	;; [unrolled: 1-line block ×4, first 2 shown]
	v_fmamk_f16 v41, v31, 0xb574, v43
	v_fmamk_f16 v42, v21, 0xb574, v44
	v_fma_f16 v24, v24, 0xbb00, -v43
	v_fma_f16 v19, v19, 0xbb00, -v44
	;; [unrolled: 1-line block ×3, first 2 shown]
	v_add_f16_e32 v33, v13, v33
	v_add_f16_e32 v43, v38, v46
	v_fmamk_f16 v12, v12, 0xbcab, v32
	v_fmamk_f16 v25, v25, 0xbcab, v45
	v_fma_f16 v31, v31, 0x3574, -v47
	v_fmamk_f16 v48, v11, 0xb574, v54
	v_fma_f16 v10, v10, 0xbb00, -v54
	v_fma_f16 v11, v11, 0x3574, -v56
	v_fmamk_f16 v14, v14, 0x2b26, v23
	v_fmamk_f16 v36, v36, 0x2b26, v34
	v_fma_f16 v44, v51, 0x39e0, -v49
	v_fma_f16 v46, v52, 0x39e0, -v50
	v_fma_f16 v23, v51, 0xb9e0, -v23
	v_fma_f16 v34, v52, 0xb9e0, -v34
	v_fmamk_f16 v47, v39, 0xb574, v53
	v_fma_f16 v37, v37, 0xbb00, -v53
	v_fma_f16 v39, v39, 0x3574, -v55
	v_fmac_f16_e32 v42, 0xb70e, v15
	v_fmac_f16_e32 v19, 0xb70e, v15
	;; [unrolled: 1-line block ×3, first 2 shown]
	v_fmamk_f16 v13, v13, 0xbcab, v33
	v_fmamk_f16 v15, v38, 0xbcab, v43
	v_fmac_f16_e32 v41, 0xb70e, v20
	v_add_f16_e32 v17, v17, v12
	v_add_f16_e32 v22, v22, v25
	v_fmac_f16_e32 v24, 0xb70e, v20
	v_fmac_f16_e32 v31, 0xb70e, v20
	;; [unrolled: 1-line block ×5, first 2 shown]
	v_pack_b32_f16 v9, v32, v45
	v_add_f16_e32 v30, v30, v12
	v_add_f16_e32 v32, v40, v25
	;; [unrolled: 1-line block ×4, first 2 shown]
	v_fmac_f16_e32 v47, 0xb70e, v35
	v_fmac_f16_e32 v37, 0xb70e, v35
	v_fmac_f16_e32 v39, 0xb70e, v35
	v_pack_b32_f16 v20, v33, v43
	v_add_f16_e32 v14, v14, v13
	v_add_f16_e32 v18, v36, v15
	;; [unrolled: 1-line block ×7, first 2 shown]
	v_sub_f16_e32 v34, v22, v41
	v_add_f16_e32 v35, v21, v12
	v_sub_f16_e32 v36, v16, v31
	v_sub_f16_e32 v38, v30, v19
	v_add_f16_e32 v40, v24, v32
	v_add_f16_e32 v19, v19, v30
	v_sub_f16_e32 v24, v32, v24
	v_sub_f16_e32 v12, v12, v21
	v_add_f16_e32 v16, v31, v16
	v_sub_f16_e32 v17, v17, v42
	v_add_f16_e32 v21, v41, v22
	v_add_f16_e32 v22, v48, v14
	v_sub_f16_e32 v30, v18, v47
	v_add_f16_e32 v31, v11, v13
	v_sub_f16_e32 v32, v15, v39
	v_sub_f16_e32 v41, v25, v10
	v_add_f16_e32 v42, v37, v33
	v_add_f16_e32 v10, v10, v25
	v_sub_f16_e32 v25, v33, v37
	v_sub_f16_e32 v11, v13, v11
	v_add_f16_e32 v13, v39, v15
	v_sub_f16_e32 v14, v14, v48
	v_add_f16_e32 v15, v47, v18
	v_pack_b32_f16 v18, v23, v34
	v_pack_b32_f16 v23, v35, v36
	;; [unrolled: 1-line block ×12, first 2 shown]
	ds_store_2addr_b32 v26, v9, v18 offset1:63
	ds_store_2addr_b32 v26, v23, v33 offset0:126 offset1:189
	ds_store_2addr_b32 v1, v19, v12 offset0:124 offset1:187
	;; [unrolled: 1-line block ×6, first 2 shown]
	global_wb scope:SCOPE_SE
	s_wait_dscnt 0x0
	s_barrier_signal -1
	s_barrier_wait -1
	global_inv scope:SCOPE_SE
	s_clause 0x6
	global_load_b32 v19, v[6:7], off offset:3240
	global_load_b32 v20, v[4:5], off offset:1728
	;; [unrolled: 1-line block ×7, first 2 shown]
	ds_load_2addr_b32 v[4:5], v27 offset0:122 offset1:185
	ds_load_2addr_b32 v[6:7], v28 offset0:120 offset1:183
	;; [unrolled: 1-line block ×3, first 2 shown]
	ds_load_u16 v30, v26 offset:2774
	ds_load_2addr_b32 v[11:12], v8 offset0:116 offset1:179
	ds_load_2addr_b32 v[13:14], v26 offset1:63
	ds_load_2addr_b32 v[15:16], v26 offset0:126 offset1:189
	ds_load_2addr_b32 v[17:18], v1 offset0:124 offset1:187
	global_wb scope:SCOPE_SE
	s_wait_loadcnt_dscnt 0x0
	s_barrier_signal -1
	s_barrier_wait -1
	global_inv scope:SCOPE_SE
	v_pk_mul_f16 v36, v12, v19 op_sel:[0,1]
	v_pk_mul_f16 v31, v20, v5 op_sel:[0,1]
	;; [unrolled: 1-line block ×5, first 2 shown]
	v_pk_mul_f16 v30, v30, v24 op_sel_hi:[0,1]
	v_pk_mul_f16 v35, v11, v25 op_sel:[0,1]
	v_pk_fma_f16 v37, v20, v5, v31 op_sel:[0,0,1] op_sel_hi:[1,1,0]
	v_pk_fma_f16 v5, v20, v5, v31 op_sel:[0,0,1] op_sel_hi:[1,0,0] neg_lo:[1,0,0] neg_hi:[1,0,0]
	v_pk_fma_f16 v20, v21, v6, v32 op_sel:[0,0,1] op_sel_hi:[1,1,0]
	v_pk_fma_f16 v6, v21, v6, v32 op_sel:[0,0,1] op_sel_hi:[1,0,0] neg_lo:[1,0,0] neg_hi:[1,0,0]
	;; [unrolled: 2-line block ×7, first 2 shown]
	v_bfi_b32 v5, 0xffff, v37, v5
	v_bfi_b32 v6, 0xffff, v20, v6
	;; [unrolled: 1-line block ×7, first 2 shown]
	v_pk_add_f16 v5, v13, v5 neg_lo:[0,1] neg_hi:[0,1]
	v_pk_add_f16 v6, v14, v6 neg_lo:[0,1] neg_hi:[0,1]
	;; [unrolled: 1-line block ×7, first 2 shown]
	v_pk_fma_f16 v13, v13, 2.0, v5 op_sel_hi:[1,0,1] neg_lo:[0,0,1] neg_hi:[0,0,1]
	v_pk_fma_f16 v14, v14, 2.0, v6 op_sel_hi:[1,0,1] neg_lo:[0,0,1] neg_hi:[0,0,1]
	;; [unrolled: 1-line block ×7, first 2 shown]
	ds_store_2addr_b32 v28, v6, v7 offset0:120 offset1:183
	ds_store_2addr_b32 v29, v9, v10 offset0:118 offset1:181
	;; [unrolled: 1-line block ×3, first 2 shown]
	ds_store_2addr_b32 v26, v13, v14 offset1:63
	ds_store_2addr_b32 v26, v15, v16 offset0:126 offset1:189
	ds_store_2addr_b32 v1, v17, v18 offset0:124 offset1:187
	;; [unrolled: 1-line block ×3, first 2 shown]
	global_wb scope:SCOPE_SE
	s_wait_dscnt 0x0
	s_barrier_signal -1
	s_barrier_wait -1
	global_inv scope:SCOPE_SE
	s_and_saveexec_b32 s0, vcc_lo
	s_cbranch_execz .LBB0_21
; %bb.20:
	v_dual_mov_b32 v1, 0 :: v_dual_add_nc_u32 v4, 63, v0
	v_add_co_u32 v29, vcc_lo, s8, v2
	s_wait_alu 0xfffd
	v_add_co_ci_u32_e32 v30, vcc_lo, s9, v3, vcc_lo
	s_delay_alu instid0(VALU_DEP_3) | instskip(SKIP_3) | instid1(VALU_DEP_4)
	v_dual_mov_b32 v5, v1 :: v_dual_add_nc_u32 v8, 0x7e, v0
	v_lshlrev_b64_e32 v[2:3], 2, v[0:1]
	v_dual_mov_b32 v9, v1 :: v_dual_add_nc_u32 v10, 0xbd, v0
	v_lshl_add_u32 v28, v0, 2, 0
	v_lshlrev_b64_e32 v[4:5], 2, v[4:5]
	v_dual_mov_b32 v11, v1 :: v_dual_add_nc_u32 v14, 0xfc, v0
	v_add_co_u32 v2, vcc_lo, v29, v2
	v_lshlrev_b64_e32 v[8:9], 2, v[8:9]
	v_dual_mov_b32 v15, v1 :: v_dual_add_nc_u32 v16, 0x200, v28
	s_wait_alu 0xfffd
	v_add_co_ci_u32_e32 v3, vcc_lo, v30, v3, vcc_lo
	ds_load_2addr_b32 v[6:7], v28 offset1:63
	v_add_co_u32 v4, vcc_lo, v29, v4
	v_lshlrev_b64_e32 v[10:11], 2, v[10:11]
	v_dual_mov_b32 v19, v1 :: v_dual_add_nc_u32 v18, 0x13b, v0
	v_dual_mov_b32 v23, v1 :: v_dual_add_nc_u32 v24, 0x400, v28
	s_wait_alu 0xfffd
	v_add_co_ci_u32_e32 v5, vcc_lo, v30, v5, vcc_lo
	ds_load_2addr_b32 v[12:13], v28 offset0:126 offset1:189
	v_add_co_u32 v8, vcc_lo, v29, v8
	v_lshlrev_b64_e32 v[14:15], 2, v[14:15]
	ds_load_2addr_b32 v[16:17], v16 offset0:124 offset1:187
	v_dual_mov_b32 v21, v1 :: v_dual_add_nc_u32 v20, 0x17a, v0
	s_wait_alu 0xfffd
	v_add_co_ci_u32_e32 v9, vcc_lo, v30, v9, vcc_lo
	v_add_co_u32 v10, vcc_lo, v29, v10
	v_lshlrev_b64_e32 v[18:19], 2, v[18:19]
	ds_load_2addr_b32 v[24:25], v24 offset0:122 offset1:185
	v_dual_mov_b32 v27, v1 :: v_dual_add_nc_u32 v22, 0x1b9, v0
	s_wait_alu 0xfffd
	v_add_co_ci_u32_e32 v11, vcc_lo, v30, v11, vcc_lo
	v_add_co_u32 v14, vcc_lo, v29, v14
	v_lshlrev_b64_e32 v[20:21], 2, v[20:21]
	s_wait_alu 0xfffd
	v_add_co_ci_u32_e32 v15, vcc_lo, v30, v15, vcc_lo
	v_add_co_u32 v18, vcc_lo, v29, v18
	v_lshlrev_b64_e32 v[22:23], 2, v[22:23]
	s_wait_alu 0xfffd
	v_add_co_ci_u32_e32 v19, vcc_lo, v30, v19, vcc_lo
	v_add_co_u32 v20, vcc_lo, v29, v20
	s_wait_alu 0xfffd
	v_add_co_ci_u32_e32 v21, vcc_lo, v30, v21, vcc_lo
	v_add_nc_u32_e32 v26, 0x1f8, v0
	v_add_co_u32 v22, vcc_lo, v29, v22
	s_wait_alu 0xfffd
	v_add_co_ci_u32_e32 v23, vcc_lo, v30, v23, vcc_lo
	v_add_nc_u32_e32 v31, 0x600, v28
	s_wait_dscnt 0x3
	s_clause 0x1
	global_store_b32 v[2:3], v6, off
	global_store_b32 v[4:5], v7, off
	s_wait_dscnt 0x2
	s_clause 0x1
	global_store_b32 v[8:9], v12, off
	global_store_b32 v[10:11], v13, off
	;; [unrolled: 4-line block ×4, first 2 shown]
	v_dual_mov_b32 v5, v1 :: v_dual_add_nc_u32 v4, 0x237, v0
	v_mov_b32_e32 v9, v1
	v_lshlrev_b64_e32 v[26:27], 2, v[26:27]
	v_dual_mov_b32 v15, v1 :: v_dual_add_nc_u32 v12, 0x800, v28
	v_dual_mov_b32 v11, v1 :: v_dual_add_nc_u32 v8, 0x276, v0
	v_add_nc_u32_e32 v16, 0xa00, v28
	ds_load_2addr_b32 v[2:3], v31 offset0:120 offset1:183
	v_lshlrev_b64_e32 v[4:5], 2, v[4:5]
	v_add_nc_u32_e32 v10, 0x2b5, v0
	ds_load_2addr_b32 v[12:13], v12 offset0:118 offset1:181
	v_add_co_u32 v6, vcc_lo, v29, v26
	v_lshlrev_b64_e32 v[8:9], 2, v[8:9]
	v_add_nc_u32_e32 v14, 0x2f4, v0
	ds_load_2addr_b32 v[16:17], v16 offset0:116 offset1:179
	s_wait_alu 0xfffd
	v_add_co_ci_u32_e32 v7, vcc_lo, v30, v27, vcc_lo
	v_add_co_u32 v4, vcc_lo, v29, v4
	v_lshlrev_b64_e32 v[10:11], 2, v[10:11]
	v_add_nc_u32_e32 v0, 0x333, v0
	s_wait_alu 0xfffd
	v_add_co_ci_u32_e32 v5, vcc_lo, v30, v5, vcc_lo
	v_add_co_u32 v8, vcc_lo, v29, v8
	v_lshlrev_b64_e32 v[14:15], 2, v[14:15]
	s_wait_alu 0xfffd
	v_add_co_ci_u32_e32 v9, vcc_lo, v30, v9, vcc_lo
	v_add_co_u32 v10, vcc_lo, v29, v10
	v_lshlrev_b64_e32 v[0:1], 2, v[0:1]
	s_wait_alu 0xfffd
	v_add_co_ci_u32_e32 v11, vcc_lo, v30, v11, vcc_lo
	v_add_co_u32 v14, vcc_lo, v29, v14
	s_wait_alu 0xfffd
	v_add_co_ci_u32_e32 v15, vcc_lo, v30, v15, vcc_lo
	v_add_co_u32 v0, vcc_lo, v29, v0
	s_wait_alu 0xfffd
	v_add_co_ci_u32_e32 v1, vcc_lo, v30, v1, vcc_lo
	s_wait_dscnt 0x2
	s_clause 0x1
	global_store_b32 v[6:7], v2, off
	global_store_b32 v[4:5], v3, off
	s_wait_dscnt 0x1
	s_clause 0x1
	global_store_b32 v[8:9], v12, off
	global_store_b32 v[10:11], v13, off
	;; [unrolled: 4-line block ×3, first 2 shown]
.LBB0_21:
	s_nop 0
	s_sendmsg sendmsg(MSG_DEALLOC_VGPRS)
	s_endpgm
	.section	.rodata,"a",@progbits
	.p2align	6, 0x0
	.amdhsa_kernel fft_rtc_back_len882_factors_9_7_7_2_wgs_63_tpt_63_half_ip_CI_unitstride_sbrr_C2R_dirReg
		.amdhsa_group_segment_fixed_size 0
		.amdhsa_private_segment_fixed_size 0
		.amdhsa_kernarg_size 88
		.amdhsa_user_sgpr_count 2
		.amdhsa_user_sgpr_dispatch_ptr 0
		.amdhsa_user_sgpr_queue_ptr 0
		.amdhsa_user_sgpr_kernarg_segment_ptr 1
		.amdhsa_user_sgpr_dispatch_id 0
		.amdhsa_user_sgpr_private_segment_size 0
		.amdhsa_wavefront_size32 1
		.amdhsa_uses_dynamic_stack 0
		.amdhsa_enable_private_segment 0
		.amdhsa_system_sgpr_workgroup_id_x 1
		.amdhsa_system_sgpr_workgroup_id_y 0
		.amdhsa_system_sgpr_workgroup_id_z 0
		.amdhsa_system_sgpr_workgroup_info 0
		.amdhsa_system_vgpr_workitem_id 0
		.amdhsa_next_free_vgpr 74
		.amdhsa_next_free_sgpr 32
		.amdhsa_reserve_vcc 1
		.amdhsa_float_round_mode_32 0
		.amdhsa_float_round_mode_16_64 0
		.amdhsa_float_denorm_mode_32 3
		.amdhsa_float_denorm_mode_16_64 3
		.amdhsa_fp16_overflow 0
		.amdhsa_workgroup_processor_mode 1
		.amdhsa_memory_ordered 1
		.amdhsa_forward_progress 0
		.amdhsa_round_robin_scheduling 0
		.amdhsa_exception_fp_ieee_invalid_op 0
		.amdhsa_exception_fp_denorm_src 0
		.amdhsa_exception_fp_ieee_div_zero 0
		.amdhsa_exception_fp_ieee_overflow 0
		.amdhsa_exception_fp_ieee_underflow 0
		.amdhsa_exception_fp_ieee_inexact 0
		.amdhsa_exception_int_div_zero 0
	.end_amdhsa_kernel
	.text
.Lfunc_end0:
	.size	fft_rtc_back_len882_factors_9_7_7_2_wgs_63_tpt_63_half_ip_CI_unitstride_sbrr_C2R_dirReg, .Lfunc_end0-fft_rtc_back_len882_factors_9_7_7_2_wgs_63_tpt_63_half_ip_CI_unitstride_sbrr_C2R_dirReg
                                        ; -- End function
	.section	.AMDGPU.csdata,"",@progbits
; Kernel info:
; codeLenInByte = 9896
; NumSgprs: 34
; NumVgprs: 74
; ScratchSize: 0
; MemoryBound: 0
; FloatMode: 240
; IeeeMode: 1
; LDSByteSize: 0 bytes/workgroup (compile time only)
; SGPRBlocks: 4
; VGPRBlocks: 9
; NumSGPRsForWavesPerEU: 34
; NumVGPRsForWavesPerEU: 74
; Occupancy: 16
; WaveLimiterHint : 1
; COMPUTE_PGM_RSRC2:SCRATCH_EN: 0
; COMPUTE_PGM_RSRC2:USER_SGPR: 2
; COMPUTE_PGM_RSRC2:TRAP_HANDLER: 0
; COMPUTE_PGM_RSRC2:TGID_X_EN: 1
; COMPUTE_PGM_RSRC2:TGID_Y_EN: 0
; COMPUTE_PGM_RSRC2:TGID_Z_EN: 0
; COMPUTE_PGM_RSRC2:TIDIG_COMP_CNT: 0
	.text
	.p2alignl 7, 3214868480
	.fill 96, 4, 3214868480
	.type	__hip_cuid_e5bb2dacccb109d2,@object ; @__hip_cuid_e5bb2dacccb109d2
	.section	.bss,"aw",@nobits
	.globl	__hip_cuid_e5bb2dacccb109d2
__hip_cuid_e5bb2dacccb109d2:
	.byte	0                               ; 0x0
	.size	__hip_cuid_e5bb2dacccb109d2, 1

	.ident	"AMD clang version 19.0.0git (https://github.com/RadeonOpenCompute/llvm-project roc-6.4.0 25133 c7fe45cf4b819c5991fe208aaa96edf142730f1d)"
	.section	".note.GNU-stack","",@progbits
	.addrsig
	.addrsig_sym __hip_cuid_e5bb2dacccb109d2
	.amdgpu_metadata
---
amdhsa.kernels:
  - .args:
      - .actual_access:  read_only
        .address_space:  global
        .offset:         0
        .size:           8
        .value_kind:     global_buffer
      - .offset:         8
        .size:           8
        .value_kind:     by_value
      - .actual_access:  read_only
        .address_space:  global
        .offset:         16
        .size:           8
        .value_kind:     global_buffer
      - .actual_access:  read_only
        .address_space:  global
        .offset:         24
        .size:           8
        .value_kind:     global_buffer
      - .offset:         32
        .size:           8
        .value_kind:     by_value
      - .actual_access:  read_only
        .address_space:  global
        .offset:         40
        .size:           8
        .value_kind:     global_buffer
      - .actual_access:  read_only
        .address_space:  global
        .offset:         48
        .size:           8
        .value_kind:     global_buffer
      - .offset:         56
        .size:           4
        .value_kind:     by_value
      - .actual_access:  read_only
        .address_space:  global
        .offset:         64
        .size:           8
        .value_kind:     global_buffer
      - .actual_access:  read_only
        .address_space:  global
        .offset:         72
        .size:           8
        .value_kind:     global_buffer
      - .address_space:  global
        .offset:         80
        .size:           8
        .value_kind:     global_buffer
    .group_segment_fixed_size: 0
    .kernarg_segment_align: 8
    .kernarg_segment_size: 88
    .language:       OpenCL C
    .language_version:
      - 2
      - 0
    .max_flat_workgroup_size: 63
    .name:           fft_rtc_back_len882_factors_9_7_7_2_wgs_63_tpt_63_half_ip_CI_unitstride_sbrr_C2R_dirReg
    .private_segment_fixed_size: 0
    .sgpr_count:     34
    .sgpr_spill_count: 0
    .symbol:         fft_rtc_back_len882_factors_9_7_7_2_wgs_63_tpt_63_half_ip_CI_unitstride_sbrr_C2R_dirReg.kd
    .uniform_work_group_size: 1
    .uses_dynamic_stack: false
    .vgpr_count:     74
    .vgpr_spill_count: 0
    .wavefront_size: 32
    .workgroup_processor_mode: 1
amdhsa.target:   amdgcn-amd-amdhsa--gfx1201
amdhsa.version:
  - 1
  - 2
...

	.end_amdgpu_metadata
